;; amdgpu-corpus repo=ROCm/rocFFT kind=compiled arch=gfx906 opt=O3
	.text
	.amdgcn_target "amdgcn-amd-amdhsa--gfx906"
	.amdhsa_code_object_version 6
	.protected	fft_rtc_back_len378_factors_6_3_3_7_wgs_126_tpt_126_sp_op_CI_CI_unitstride_sbrr_R2C_dirReg ; -- Begin function fft_rtc_back_len378_factors_6_3_3_7_wgs_126_tpt_126_sp_op_CI_CI_unitstride_sbrr_R2C_dirReg
	.globl	fft_rtc_back_len378_factors_6_3_3_7_wgs_126_tpt_126_sp_op_CI_CI_unitstride_sbrr_R2C_dirReg
	.p2align	8
	.type	fft_rtc_back_len378_factors_6_3_3_7_wgs_126_tpt_126_sp_op_CI_CI_unitstride_sbrr_R2C_dirReg,@function
fft_rtc_back_len378_factors_6_3_3_7_wgs_126_tpt_126_sp_op_CI_CI_unitstride_sbrr_R2C_dirReg: ; @fft_rtc_back_len378_factors_6_3_3_7_wgs_126_tpt_126_sp_op_CI_CI_unitstride_sbrr_R2C_dirReg
; %bb.0:
	s_load_dwordx4 s[8:11], s[4:5], 0x58
	s_load_dwordx4 s[12:15], s[4:5], 0x0
	;; [unrolled: 1-line block ×3, first 2 shown]
	v_mul_u32_u24_e32 v1, 0x209, v0
	v_add_u32_sdwa v5, s6, v1 dst_sel:DWORD dst_unused:UNUSED_PAD src0_sel:DWORD src1_sel:WORD_1
	v_mov_b32_e32 v3, 0
	s_waitcnt lgkmcnt(0)
	v_cmp_lt_u64_e64 s[0:1], s[14:15], 2
	v_mov_b32_e32 v1, 0
	v_mov_b32_e32 v6, v3
	s_and_b64 vcc, exec, s[0:1]
	v_mov_b32_e32 v2, 0
	s_cbranch_vccnz .LBB0_8
; %bb.1:
	s_load_dwordx2 s[0:1], s[4:5], 0x10
	s_add_u32 s2, s18, 8
	s_addc_u32 s3, s19, 0
	s_add_u32 s6, s16, 8
	v_mov_b32_e32 v1, 0
	s_addc_u32 s7, s17, 0
	v_mov_b32_e32 v2, 0
	s_waitcnt lgkmcnt(0)
	s_add_u32 s20, s0, 8
	v_mov_b32_e32 v13, v2
	s_addc_u32 s21, s1, 0
	s_mov_b64 s[22:23], 1
	v_mov_b32_e32 v12, v1
.LBB0_2:                                ; =>This Inner Loop Header: Depth=1
	s_load_dwordx2 s[24:25], s[20:21], 0x0
                                        ; implicit-def: $vgpr14_vgpr15
	s_waitcnt lgkmcnt(0)
	v_or_b32_e32 v4, s25, v6
	v_cmp_ne_u64_e32 vcc, 0, v[3:4]
	s_and_saveexec_b64 s[0:1], vcc
	s_xor_b64 s[26:27], exec, s[0:1]
	s_cbranch_execz .LBB0_4
; %bb.3:                                ;   in Loop: Header=BB0_2 Depth=1
	v_cvt_f32_u32_e32 v4, s24
	v_cvt_f32_u32_e32 v7, s25
	s_sub_u32 s0, 0, s24
	s_subb_u32 s1, 0, s25
	v_mac_f32_e32 v4, 0x4f800000, v7
	v_rcp_f32_e32 v4, v4
	v_mul_f32_e32 v4, 0x5f7ffffc, v4
	v_mul_f32_e32 v7, 0x2f800000, v4
	v_trunc_f32_e32 v7, v7
	v_mac_f32_e32 v4, 0xcf800000, v7
	v_cvt_u32_f32_e32 v7, v7
	v_cvt_u32_f32_e32 v4, v4
	v_mul_lo_u32 v8, s0, v7
	v_mul_hi_u32 v9, s0, v4
	v_mul_lo_u32 v11, s1, v4
	v_mul_lo_u32 v10, s0, v4
	v_add_u32_e32 v8, v9, v8
	v_add_u32_e32 v8, v8, v11
	v_mul_hi_u32 v9, v4, v10
	v_mul_lo_u32 v11, v4, v8
	v_mul_hi_u32 v15, v4, v8
	v_mul_hi_u32 v14, v7, v10
	v_mul_lo_u32 v10, v7, v10
	v_mul_hi_u32 v16, v7, v8
	v_add_co_u32_e32 v9, vcc, v9, v11
	v_addc_co_u32_e32 v11, vcc, 0, v15, vcc
	v_mul_lo_u32 v8, v7, v8
	v_add_co_u32_e32 v9, vcc, v9, v10
	v_addc_co_u32_e32 v9, vcc, v11, v14, vcc
	v_addc_co_u32_e32 v10, vcc, 0, v16, vcc
	v_add_co_u32_e32 v8, vcc, v9, v8
	v_addc_co_u32_e32 v9, vcc, 0, v10, vcc
	v_add_co_u32_e32 v4, vcc, v4, v8
	v_addc_co_u32_e32 v7, vcc, v7, v9, vcc
	v_mul_lo_u32 v8, s0, v7
	v_mul_hi_u32 v9, s0, v4
	v_mul_lo_u32 v10, s1, v4
	v_mul_lo_u32 v11, s0, v4
	v_add_u32_e32 v8, v9, v8
	v_add_u32_e32 v8, v8, v10
	v_mul_lo_u32 v14, v4, v8
	v_mul_hi_u32 v15, v4, v11
	v_mul_hi_u32 v16, v4, v8
	v_mul_hi_u32 v10, v7, v11
	v_mul_lo_u32 v11, v7, v11
	v_mul_hi_u32 v9, v7, v8
	v_add_co_u32_e32 v14, vcc, v15, v14
	v_addc_co_u32_e32 v15, vcc, 0, v16, vcc
	v_mul_lo_u32 v8, v7, v8
	v_add_co_u32_e32 v11, vcc, v14, v11
	v_addc_co_u32_e32 v10, vcc, v15, v10, vcc
	v_addc_co_u32_e32 v9, vcc, 0, v9, vcc
	v_add_co_u32_e32 v8, vcc, v10, v8
	v_addc_co_u32_e32 v9, vcc, 0, v9, vcc
	v_add_co_u32_e32 v4, vcc, v4, v8
	v_addc_co_u32_e32 v9, vcc, v7, v9, vcc
	v_mad_u64_u32 v[7:8], s[0:1], v5, v9, 0
	v_mul_hi_u32 v10, v5, v4
	v_add_co_u32_e32 v11, vcc, v10, v7
	v_addc_co_u32_e32 v14, vcc, 0, v8, vcc
	v_mad_u64_u32 v[7:8], s[0:1], v6, v4, 0
	v_mad_u64_u32 v[9:10], s[0:1], v6, v9, 0
	v_add_co_u32_e32 v4, vcc, v11, v7
	v_addc_co_u32_e32 v4, vcc, v14, v8, vcc
	v_addc_co_u32_e32 v7, vcc, 0, v10, vcc
	v_add_co_u32_e32 v4, vcc, v4, v9
	v_addc_co_u32_e32 v9, vcc, 0, v7, vcc
	v_mul_lo_u32 v10, s25, v4
	v_mul_lo_u32 v11, s24, v9
	v_mad_u64_u32 v[7:8], s[0:1], s24, v4, 0
	v_add3_u32 v8, v8, v11, v10
	v_sub_u32_e32 v10, v6, v8
	v_mov_b32_e32 v11, s25
	v_sub_co_u32_e32 v7, vcc, v5, v7
	v_subb_co_u32_e64 v10, s[0:1], v10, v11, vcc
	v_subrev_co_u32_e64 v11, s[0:1], s24, v7
	v_subbrev_co_u32_e64 v10, s[0:1], 0, v10, s[0:1]
	v_cmp_le_u32_e64 s[0:1], s25, v10
	v_cndmask_b32_e64 v14, 0, -1, s[0:1]
	v_cmp_le_u32_e64 s[0:1], s24, v11
	v_cndmask_b32_e64 v11, 0, -1, s[0:1]
	v_cmp_eq_u32_e64 s[0:1], s25, v10
	v_cndmask_b32_e64 v10, v14, v11, s[0:1]
	v_add_co_u32_e64 v11, s[0:1], 2, v4
	v_addc_co_u32_e64 v14, s[0:1], 0, v9, s[0:1]
	v_add_co_u32_e64 v16, s[0:1], 1, v4
	v_addc_co_u32_e64 v15, s[0:1], 0, v9, s[0:1]
	v_subb_co_u32_e32 v8, vcc, v6, v8, vcc
	v_cmp_ne_u32_e64 s[0:1], 0, v10
	v_cmp_le_u32_e32 vcc, s25, v8
	v_cndmask_b32_e64 v10, v15, v14, s[0:1]
	v_cndmask_b32_e64 v14, 0, -1, vcc
	v_cmp_le_u32_e32 vcc, s24, v7
	v_cndmask_b32_e64 v7, 0, -1, vcc
	v_cmp_eq_u32_e32 vcc, s25, v8
	v_cndmask_b32_e32 v7, v14, v7, vcc
	v_cmp_ne_u32_e32 vcc, 0, v7
	v_cndmask_b32_e64 v7, v16, v11, s[0:1]
	v_cndmask_b32_e32 v15, v9, v10, vcc
	v_cndmask_b32_e32 v14, v4, v7, vcc
.LBB0_4:                                ;   in Loop: Header=BB0_2 Depth=1
	s_andn2_saveexec_b64 s[0:1], s[26:27]
	s_cbranch_execz .LBB0_6
; %bb.5:                                ;   in Loop: Header=BB0_2 Depth=1
	v_cvt_f32_u32_e32 v4, s24
	s_sub_i32 s26, 0, s24
	v_mov_b32_e32 v15, v3
	v_rcp_iflag_f32_e32 v4, v4
	v_mul_f32_e32 v4, 0x4f7ffffe, v4
	v_cvt_u32_f32_e32 v4, v4
	v_mul_lo_u32 v7, s26, v4
	v_mul_hi_u32 v7, v4, v7
	v_add_u32_e32 v4, v4, v7
	v_mul_hi_u32 v4, v5, v4
	v_mul_lo_u32 v7, v4, s24
	v_add_u32_e32 v8, 1, v4
	v_sub_u32_e32 v7, v5, v7
	v_subrev_u32_e32 v9, s24, v7
	v_cmp_le_u32_e32 vcc, s24, v7
	v_cndmask_b32_e32 v7, v7, v9, vcc
	v_cndmask_b32_e32 v4, v4, v8, vcc
	v_add_u32_e32 v8, 1, v4
	v_cmp_le_u32_e32 vcc, s24, v7
	v_cndmask_b32_e32 v14, v4, v8, vcc
.LBB0_6:                                ;   in Loop: Header=BB0_2 Depth=1
	s_or_b64 exec, exec, s[0:1]
	v_mul_lo_u32 v4, v15, s24
	v_mul_lo_u32 v9, v14, s25
	v_mad_u64_u32 v[7:8], s[0:1], v14, s24, 0
	s_load_dwordx2 s[0:1], s[6:7], 0x0
	s_load_dwordx2 s[24:25], s[2:3], 0x0
	v_add3_u32 v4, v8, v9, v4
	v_sub_co_u32_e32 v5, vcc, v5, v7
	v_subb_co_u32_e32 v4, vcc, v6, v4, vcc
	s_waitcnt lgkmcnt(0)
	v_mul_lo_u32 v6, s0, v4
	v_mul_lo_u32 v7, s1, v5
	v_mad_u64_u32 v[1:2], s[0:1], s0, v5, v[1:2]
	v_mul_lo_u32 v4, s24, v4
	v_mul_lo_u32 v8, s25, v5
	v_mad_u64_u32 v[12:13], s[0:1], s24, v5, v[12:13]
	s_add_u32 s22, s22, 1
	s_addc_u32 s23, s23, 0
	s_add_u32 s2, s2, 8
	v_add3_u32 v13, v8, v13, v4
	s_addc_u32 s3, s3, 0
	v_mov_b32_e32 v4, s14
	s_add_u32 s6, s6, 8
	v_mov_b32_e32 v5, s15
	s_addc_u32 s7, s7, 0
	v_cmp_ge_u64_e32 vcc, s[22:23], v[4:5]
	s_add_u32 s20, s20, 8
	v_add3_u32 v2, v7, v2, v6
	s_addc_u32 s21, s21, 0
	s_cbranch_vccnz .LBB0_9
; %bb.7:                                ;   in Loop: Header=BB0_2 Depth=1
	v_mov_b32_e32 v5, v14
	v_mov_b32_e32 v6, v15
	s_branch .LBB0_2
.LBB0_8:
	v_mov_b32_e32 v13, v2
	v_mov_b32_e32 v15, v6
	;; [unrolled: 1-line block ×4, first 2 shown]
.LBB0_9:
	s_load_dwordx2 s[0:1], s[4:5], 0x28
	s_lshl_b64 s[6:7], s[14:15], 3
	s_add_u32 s2, s18, s6
	s_addc_u32 s3, s19, s7
                                        ; implicit-def: $vgpr16
	s_waitcnt lgkmcnt(0)
	v_cmp_gt_u64_e32 vcc, s[0:1], v[14:15]
	v_cmp_le_u64_e64 s[0:1], s[0:1], v[14:15]
	s_and_saveexec_b64 s[4:5], s[0:1]
	s_xor_b64 s[0:1], exec, s[4:5]
; %bb.10:
	s_mov_b32 s4, 0x2082083
	v_mul_hi_u32 v1, v0, s4
	v_mul_u32_u24_e32 v1, 0x7e, v1
	v_sub_u32_e32 v16, v0, v1
                                        ; implicit-def: $vgpr0
                                        ; implicit-def: $vgpr1_vgpr2
; %bb.11:
	s_andn2_saveexec_b64 s[4:5], s[0:1]
	s_cbranch_execz .LBB0_13
; %bb.12:
	s_add_u32 s0, s16, s6
	s_addc_u32 s1, s17, s7
	s_load_dwordx2 s[0:1], s[0:1], 0x0
	s_mov_b32 s6, 0x2082083
	v_mul_hi_u32 v5, v0, s6
	s_waitcnt lgkmcnt(0)
	v_mul_lo_u32 v6, s1, v14
	v_mul_lo_u32 v7, s0, v15
	v_mad_u64_u32 v[3:4], s[0:1], s0, v14, 0
	v_mul_u32_u24_e32 v5, 0x7e, v5
	v_sub_u32_e32 v16, v0, v5
	v_add3_u32 v4, v4, v7, v6
	v_lshlrev_b64 v[3:4], 3, v[3:4]
	v_mov_b32_e32 v0, s9
	v_add_co_u32_e64 v3, s[0:1], s8, v3
	v_addc_co_u32_e64 v4, s[0:1], v0, v4, s[0:1]
	v_lshlrev_b64 v[0:1], 3, v[1:2]
	v_lshlrev_b32_e32 v8, 3, v16
	v_add_co_u32_e64 v0, s[0:1], v3, v0
	v_addc_co_u32_e64 v1, s[0:1], v4, v1, s[0:1]
	v_add_co_u32_e64 v0, s[0:1], v0, v8
	v_addc_co_u32_e64 v1, s[0:1], 0, v1, s[0:1]
	global_load_dwordx2 v[2:3], v[0:1], off
	global_load_dwordx2 v[4:5], v[0:1], off offset:1008
	global_load_dwordx2 v[6:7], v[0:1], off offset:2016
	v_add_u32_e32 v0, 0, v8
	s_waitcnt vmcnt(1)
	ds_write2_b64 v0, v[2:3], v[4:5] offset1:126
	s_waitcnt vmcnt(0)
	ds_write_b64 v0, v[6:7] offset:2016
.LBB0_13:
	s_or_b64 exec, exec, s[4:5]
	v_lshl_add_u32 v19, v16, 3, 0
	v_add_u32_e32 v0, 0x400, v19
	s_waitcnt lgkmcnt(0)
	s_barrier
	ds_read2_b64 v[1:4], v19 offset1:63
	ds_read2_b64 v[20:23], v19 offset0:126 offset1:189
	ds_read2_b64 v[24:27], v0 offset0:124 offset1:187
	v_cmp_gt_u32_e64 s[0:1], 63, v16
	s_waitcnt lgkmcnt(0)
	s_barrier
	v_add_f32_e32 v0, v1, v20
	v_add_f32_e32 v5, v20, v24
	v_fma_f32 v1, -0.5, v5, v1
	v_sub_f32_e32 v5, v21, v25
	v_mov_b32_e32 v8, v1
	v_fmac_f32_e32 v8, 0xbf5db3d7, v5
	v_fmac_f32_e32 v1, 0x3f5db3d7, v5
	v_add_f32_e32 v5, v2, v21
	v_add_f32_e32 v9, v5, v25
	v_add_f32_e32 v5, v21, v25
	v_fma_f32 v10, -0.5, v5, v2
	v_sub_f32_e32 v2, v20, v24
	v_mov_b32_e32 v11, v10
	v_fmac_f32_e32 v11, 0x3f5db3d7, v2
	v_fmac_f32_e32 v10, 0xbf5db3d7, v2
	v_add_f32_e32 v2, v3, v22
	;; [unrolled: 8-line block ×3, first 2 shown]
	v_add_f32_e32 v18, v3, v27
	v_add_f32_e32 v3, v23, v27
	v_fmac_f32_e32 v4, -0.5, v3
	v_sub_f32_e32 v3, v22, v26
	v_mov_b32_e32 v6, v4
	v_fmac_f32_e32 v6, 0x3f5db3d7, v3
	v_fmac_f32_e32 v4, 0xbf5db3d7, v3
	v_mul_f32_e32 v20, 0xbf5db3d7, v6
	v_mul_f32_e32 v21, 0xbf5db3d7, v4
	v_mul_f32_e32 v22, 0.5, v6
	v_mul_f32_e32 v23, -0.5, v4
	v_add_f32_e32 v0, v0, v24
	v_fmac_f32_e32 v20, 0.5, v5
	v_fmac_f32_e32 v21, -0.5, v2
	v_fmac_f32_e32 v22, 0x3f5db3d7, v5
	v_fmac_f32_e32 v23, 0x3f5db3d7, v2
	v_sub_f32_e32 v2, v0, v17
	v_sub_f32_e32 v4, v8, v20
	;; [unrolled: 1-line block ×6, first 2 shown]
	s_and_saveexec_b64 s[4:5], s[0:1]
	s_cbranch_execz .LBB0_15
; %bb.14:
	v_add_f32_e32 v22, v11, v22
	v_add_f32_e32 v18, v9, v18
	;; [unrolled: 1-line block ×5, first 2 shown]
	v_mad_u32_u24 v0, v16, 40, v19
	v_add_f32_e32 v10, v10, v23
	ds_write2_b64 v0, v[17:18], v[21:22] offset1:1
	ds_write2_b64 v0, v[9:10], v[2:3] offset0:2 offset1:3
	ds_write2_b64 v0, v[4:5], v[6:7] offset0:4 offset1:5
.LBB0_15:
	s_or_b64 exec, exec, s[4:5]
	s_load_dwordx2 s[4:5], s[2:3], 0x0
	s_movk_i32 s2, 0xab
	v_mul_lo_u16_sdwa v0, v16, s2 dst_sel:DWORD dst_unused:UNUSED_PAD src0_sel:BYTE_0 src1_sel:DWORD
	v_lshrrev_b16_e32 v17, 10, v0
	v_mul_lo_u16_e32 v0, 6, v17
	v_sub_u16_e32 v18, v16, v0
	v_mov_b32_e32 v24, 4
	v_lshlrev_b32_sdwa v0, v24, v18 dst_sel:DWORD dst_unused:UNUSED_PAD src0_sel:DWORD src1_sel:BYTE_0
	s_waitcnt lgkmcnt(0)
	s_barrier
	global_load_dwordx4 v[8:11], v0, s[12:13]
	ds_read_b64 v[0:1], v19 offset:2016
	ds_read2_b64 v[20:23], v19 offset1:126
	v_mul_u32_u24_e32 v17, 0x90, v17
	s_waitcnt vmcnt(0) lgkmcnt(0)
	s_barrier
	v_cmp_gt_u32_e64 s[2:3], 54, v16
	v_mul_f32_e32 v25, v11, v1
	v_mul_f32_e32 v11, v11, v0
	v_fmac_f32_e32 v25, v10, v0
	v_fma_f32 v10, v10, v1, -v11
	v_mul_f32_e32 v11, v9, v23
	v_mul_f32_e32 v0, v9, v22
	v_fmac_f32_e32 v11, v8, v22
	v_fma_f32 v8, v8, v23, -v0
	v_mov_b32_e32 v22, 57
	v_add_f32_e32 v0, v11, v25
	v_add_f32_e32 v1, v8, v10
	v_mul_lo_u16_sdwa v22, v16, v22 dst_sel:DWORD dst_unused:UNUSED_PAD src0_sel:BYTE_0 src1_sel:DWORD
	v_fma_f32 v0, -0.5, v0, v20
	v_fma_f32 v1, -0.5, v1, v21
	v_add_f32_e32 v9, v11, v20
	v_add_f32_e32 v20, v8, v21
	v_mov_b32_e32 v21, 3
	v_lshrrev_b16_e32 v22, 10, v22
	v_mul_lo_u16_e32 v23, 18, v22
	v_lshlrev_b32_sdwa v18, v21, v18 dst_sel:DWORD dst_unused:UNUSED_PAD src0_sel:DWORD src1_sel:BYTE_0
	v_sub_u16_e32 v23, v16, v23
	v_add3_u32 v17, 0, v17, v18
	v_sub_f32_e32 v18, v8, v10
	v_sub_f32_e32 v26, v11, v25
	v_add_f32_e32 v8, v9, v25
	v_add_f32_e32 v9, v20, v10
	v_mov_b32_e32 v10, v0
	v_mov_b32_e32 v11, v1
	v_lshlrev_b32_sdwa v24, v24, v23 dst_sel:DWORD dst_unused:UNUSED_PAD src0_sel:DWORD src1_sel:BYTE_0
	v_fmac_f32_e32 v0, 0x3f5db3d7, v18
	v_fmac_f32_e32 v1, 0xbf5db3d7, v26
	;; [unrolled: 1-line block ×4, first 2 shown]
	ds_write_b64 v17, v[0:1] offset:96
	ds_write2_b64 v17, v[8:9], v[10:11] offset1:6
	s_waitcnt lgkmcnt(0)
	s_barrier
	global_load_dwordx4 v[8:11], v24, s[12:13] offset:96
	v_mul_u32_u24_e32 v0, 0x1b0, v22
	v_lshlrev_b32_sdwa v1, v21, v23 dst_sel:DWORD dst_unused:UNUSED_PAD src0_sel:DWORD src1_sel:BYTE_0
	v_add3_u32 v17, 0, v0, v1
	ds_read2_b64 v[20:23], v19 offset1:126
	ds_read_b64 v[0:1], v19 offset:2016
	s_waitcnt vmcnt(0) lgkmcnt(0)
	s_barrier
	v_mul_f32_e32 v24, v11, v1
	v_mul_f32_e32 v18, v9, v23
	;; [unrolled: 1-line block ×3, first 2 shown]
	v_fmac_f32_e32 v24, v10, v0
	v_mul_f32_e32 v0, v9, v22
	v_fma_f32 v1, v10, v1, -v11
	v_fmac_f32_e32 v18, v8, v22
	v_fma_f32 v0, v8, v23, -v0
	v_add_f32_e32 v9, v18, v24
	v_add_f32_e32 v10, v0, v21
	;; [unrolled: 1-line block ×3, first 2 shown]
	v_sub_f32_e32 v22, v0, v1
	v_fma_f32 v0, -0.5, v9, v20
	v_add_f32_e32 v9, v10, v1
	v_fma_f32 v1, -0.5, v11, v21
	v_add_f32_e32 v8, v18, v20
	v_sub_f32_e32 v18, v18, v24
	v_mov_b32_e32 v10, v0
	v_mov_b32_e32 v11, v1
	v_add_f32_e32 v8, v8, v24
	v_fmac_f32_e32 v0, 0x3f5db3d7, v22
	v_fmac_f32_e32 v1, 0xbf5db3d7, v18
	;; [unrolled: 1-line block ×4, first 2 shown]
	ds_write_b64 v17, v[0:1] offset:288
	ds_write2_b64 v17, v[8:9], v[10:11] offset1:18
	s_waitcnt lgkmcnt(0)
	s_barrier
	s_waitcnt lgkmcnt(0)
                                        ; implicit-def: $vgpr18
	s_and_saveexec_b64 s[6:7], s[2:3]
	s_cbranch_execz .LBB0_17
; %bb.16:
	v_add_u32_e32 v4, 0x400, v19
	ds_read2_b64 v[8:11], v19 offset1:54
	ds_read2_b64 v[0:3], v19 offset0:108 offset1:162
	ds_read2_b64 v[4:7], v4 offset0:88 offset1:142
	ds_read_b64 v[17:18], v19 offset:2592
.LBB0_17:
	s_or_b64 exec, exec, s[6:7]
	s_waitcnt lgkmcnt(0)
	s_barrier
	s_and_saveexec_b64 s[6:7], s[2:3]
	s_cbranch_execz .LBB0_19
; %bb.18:
	v_mov_b32_e32 v20, 19
	v_mul_lo_u16_sdwa v20, v16, v20 dst_sel:DWORD dst_unused:UNUSED_PAD src0_sel:BYTE_0 src1_sel:DWORD
	v_lshrrev_b16_e32 v20, 10, v20
	v_mul_lo_u16_e32 v20, 54, v20
	v_sub_u16_e32 v20, v16, v20
	v_mov_b32_e32 v21, 48
	v_mul_hi_u32_u24_sdwa v22, v20, v21 dst_sel:DWORD dst_unused:UNUSED_PAD src0_sel:BYTE_0 src1_sel:DWORD
	v_mul_u32_u24_sdwa v20, v20, v21 dst_sel:DWORD dst_unused:UNUSED_PAD src0_sel:BYTE_0 src1_sel:DWORD
	v_mov_b32_e32 v21, s13
	v_add_co_u32_e64 v24, s[2:3], s12, v20
	v_addc_co_u32_e64 v25, s[2:3], v21, v22, s[2:3]
	global_load_dwordx4 v[20:23], v[24:25], off offset:416
	s_mov_b32 s2, 0x3eae86e6
	s_mov_b32 s8, 0xbf3bfb3b
	;; [unrolled: 1-line block ×3, first 2 shown]
	s_waitcnt vmcnt(0)
	v_mul_f32_e32 v26, v18, v23
	v_mul_f32_e32 v27, v7, v21
	;; [unrolled: 1-line block ×4, first 2 shown]
	v_fmac_f32_e32 v26, v17, v22
	v_fmac_f32_e32 v27, v6, v20
	v_fma_f32 v17, v18, v22, -v23
	v_fma_f32 v18, v7, v20, -v21
	global_load_dwordx4 v[20:23], v[24:25], off offset:400
	s_waitcnt vmcnt(0)
	v_mul_f32_e32 v28, v5, v23
	v_mul_f32_e32 v6, v4, v23
	v_fmac_f32_e32 v28, v4, v22
	v_fma_f32 v22, v5, v22, -v6
	global_load_dwordx4 v[4:7], v[24:25], off offset:384
	v_mul_f32_e32 v24, v3, v21
	v_mul_f32_e32 v21, v2, v21
	v_fmac_f32_e32 v24, v2, v20
	v_fma_f32 v2, v3, v20, -v21
	v_add_f32_e32 v21, v24, v28
	s_waitcnt vmcnt(0)
	v_mul_f32_e32 v23, v11, v5
	v_mul_f32_e32 v3, v1, v7
	;; [unrolled: 1-line block ×4, first 2 shown]
	v_fmac_f32_e32 v23, v10, v4
	v_fmac_f32_e32 v3, v0, v6
	v_fma_f32 v0, v11, v4, -v5
	v_fma_f32 v1, v1, v6, -v7
	v_sub_f32_e32 v6, v3, v27
	v_add_f32_e32 v7, v0, v17
	v_add_f32_e32 v11, v1, v18
	;; [unrolled: 1-line block ×4, first 2 shown]
	v_sub_f32_e32 v4, v23, v26
	v_sub_f32_e32 v5, v28, v24
	v_add_f32_e32 v10, v2, v22
	v_add_f32_e32 v24, v11, v7
	;; [unrolled: 1-line block ×3, first 2 shown]
	v_sub_f32_e32 v17, v0, v17
	v_sub_f32_e32 v0, v22, v2
	;; [unrolled: 1-line block ×5, first 2 shown]
	v_add_f32_e32 v5, v5, v6
	v_sub_f32_e32 v22, v7, v10
	v_sub_f32_e32 v25, v20, v21
	;; [unrolled: 1-line block ×5, first 2 shown]
	v_add_f32_e32 v3, v10, v24
	v_add_f32_e32 v21, v21, v27
	v_sub_f32_e32 v23, v10, v11
	v_sub_f32_e32 v28, v17, v0
	;; [unrolled: 1-line block ×4, first 2 shown]
	v_add_f32_e32 v29, v0, v18
	v_mul_f32_e32 v30, 0x3f08b237, v1
	v_add_f32_e32 v31, v5, v4
	v_mul_f32_e32 v4, 0x3f4a47b2, v22
	v_add_f32_e32 v1, v9, v3
	v_add_f32_e32 v0, v8, v21
	v_mul_f32_e32 v8, 0xbf5ff5aa, v6
	v_mov_b32_e32 v9, v4
	v_fma_f32 v27, v2, s2, -v8
	v_mov_b32_e32 v8, v1
	v_mul_f32_e32 v5, 0x3d64c772, v23
	v_mul_f32_e32 v10, 0x3f4a47b2, v25
	v_fmac_f32_e32 v9, 0x3d64c772, v23
	v_mov_b32_e32 v23, v0
	v_fmac_f32_e32 v8, 0xbf955555, v3
	v_mov_b32_e32 v25, v10
	v_fmac_f32_e32 v23, 0xbf955555, v21
	v_add_f32_e32 v21, v9, v8
	v_add_f32_e32 v9, v29, v17
	v_fma_f32 v4, v7, s8, -v4
	v_sub_f32_e32 v17, v18, v17
	v_mul_f32_e32 v22, 0x3d64c772, v26
	v_mul_f32_e32 v11, 0x3f08b237, v11
	v_fmac_f32_e32 v25, 0x3d64c772, v26
	v_add_f32_e32 v26, v4, v8
	v_mul_f32_e32 v4, 0xbf5ff5aa, v17
	v_mov_b32_e32 v24, v30
	v_mov_b32_e32 v32, v11
	v_fma_f32 v18, v28, s2, -v4
	s_mov_b32 s2, 0x3f3bfb3b
	v_fmac_f32_e32 v24, 0xbeae86e6, v2
	v_fmac_f32_e32 v32, 0xbeae86e6, v28
	v_fma_f32 v7, v7, s2, -v5
	v_fma_f32 v4, v20, s8, -v10
	v_fma_f32 v28, v6, s3, -v30
	v_fma_f32 v11, v17, s3, -v11
	v_fma_f32 v6, v20, s2, -v22
	v_fmac_f32_e32 v24, 0xbee1c552, v31
	v_add_f32_e32 v25, v25, v23
	v_fmac_f32_e32 v32, 0xbee1c552, v9
	v_add_f32_e32 v10, v4, v23
	;; [unrolled: 2-line block ×3, first 2 shown]
	v_fmac_f32_e32 v28, 0xbee1c552, v31
	v_fmac_f32_e32 v11, 0xbee1c552, v9
	v_add_f32_e32 v17, v6, v23
	v_fmac_f32_e32 v27, 0xbee1c552, v31
	v_sub_f32_e32 v4, v10, v18
	v_sub_f32_e32 v7, v8, v28
	v_add_f32_e32 v6, v11, v17
	v_add_f32_e32 v9, v28, v8
	v_sub_f32_e32 v8, v17, v11
	v_add_f32_e32 v10, v18, v10
	v_sub_f32_e32 v18, v21, v24
	v_add_f32_e32 v17, v32, v25
	v_add_f32_e32 v5, v27, v26
	v_sub_f32_e32 v11, v26, v27
	ds_write2_b64 v19, v[0:1], v[17:18] offset1:54
	ds_write2_b64 v19, v[10:11], v[8:9] offset0:108 offset1:162
	v_add_u32_e32 v0, 0x400, v19
	v_add_f32_e32 v3, v24, v21
	v_sub_f32_e32 v2, v25, v32
	ds_write2_b64 v0, v[6:7], v[4:5] offset0:88 offset1:142
	ds_write_b64 v19, v[2:3] offset:2592
.LBB0_19:
	s_or_b64 exec, exec, s[6:7]
	s_waitcnt lgkmcnt(0)
	s_barrier
	ds_read_b64 v[0:1], v19
	v_lshlrev_b32_e32 v2, 3, v16
	v_sub_u32_e32 v2, 0, v2
	v_cmp_ne_u32_e64 s[2:3], 0, v16
                                        ; implicit-def: $vgpr4
                                        ; implicit-def: $vgpr3
	s_and_saveexec_b64 s[6:7], s[2:3]
	s_xor_b64 s[6:7], exec, s[6:7]
	s_cbranch_execz .LBB0_21
; %bb.20:
	v_mov_b32_e32 v17, 0
	v_lshlrev_b64 v[3:4], 3, v[16:17]
	v_mov_b32_e32 v5, s13
	v_add_co_u32_e64 v3, s[2:3], s12, v3
	v_addc_co_u32_e64 v4, s[2:3], v5, v4, s[2:3]
	global_load_dwordx2 v[4:5], v[3:4], off offset:2976
	ds_read_b64 v[6:7], v2 offset:3024
	s_waitcnt lgkmcnt(0)
	v_add_f32_e32 v8, v6, v0
	v_add_f32_e32 v3, v7, v1
	v_sub_f32_e32 v0, v0, v6
	v_sub_f32_e32 v1, v1, v7
	v_mul_f32_e32 v6, 0.5, v3
	v_mul_f32_e32 v0, 0.5, v0
	;; [unrolled: 1-line block ×3, first 2 shown]
	s_waitcnt vmcnt(0)
	v_mul_f32_e32 v7, v5, v0
	v_fma_f32 v9, v6, v5, v1
	v_fma_f32 v1, v6, v5, -v1
	v_fma_f32 v3, 0.5, v8, v7
	v_fma_f32 v5, -v4, v0, v9
	v_fma_f32 v7, v8, 0.5, -v7
	v_fma_f32 v0, -v4, v0, v1
	v_fmac_f32_e32 v3, v4, v6
	ds_write_b32 v19, v5 offset:4
	v_fma_f32 v4, -v4, v6, v7
	ds_write_b32 v2, v0 offset:3028
                                        ; implicit-def: $vgpr0_vgpr1
.LBB0_21:
	s_andn2_saveexec_b64 s[2:3], s[6:7]
	s_cbranch_execz .LBB0_23
; %bb.22:
	v_mov_b32_e32 v5, 0
	ds_write_b32 v19, v5 offset:4
	ds_write_b32 v2, v5 offset:3028
	ds_read_b32 v6, v5 offset:1516
	s_waitcnt lgkmcnt(3)
	v_add_f32_e32 v3, v0, v1
	v_sub_f32_e32 v4, v0, v1
	s_waitcnt lgkmcnt(0)
	v_xor_b32_e32 v0, 0x80000000, v6
	ds_write_b32 v5, v0 offset:1516
.LBB0_23:
	s_or_b64 exec, exec, s[2:3]
	ds_write_b32 v19, v3
	ds_write_b32 v2, v4 offset:3024
	s_and_saveexec_b64 s[2:3], s[0:1]
	s_cbranch_execz .LBB0_25
; %bb.24:
	v_mov_b32_e32 v17, 0
	s_add_u32 s0, s12, 0xba0
	s_waitcnt lgkmcnt(2)
	v_lshlrev_b64 v[0:1], 3, v[16:17]
	s_addc_u32 s1, s13, 0
	v_mov_b32_e32 v3, s1
	v_add_co_u32_e64 v0, s[0:1], s0, v0
	v_addc_co_u32_e64 v1, s[0:1], v3, v1, s[0:1]
	global_load_dwordx2 v[0:1], v[0:1], off offset:1008
	ds_read_b64 v[3:4], v19 offset:1008
	ds_read_b64 v[5:6], v2 offset:2016
	s_waitcnt lgkmcnt(0)
	v_add_f32_e32 v7, v3, v5
	v_sub_f32_e32 v3, v3, v5
	v_add_f32_e32 v8, v4, v6
	v_sub_f32_e32 v4, v4, v6
	v_mul_f32_e32 v6, 0.5, v3
	v_mul_f32_e32 v5, 0.5, v8
	;; [unrolled: 1-line block ×3, first 2 shown]
	s_waitcnt vmcnt(0)
	v_mul_f32_e32 v8, v1, v6
	v_fma_f32 v4, v5, v1, v3
	v_fma_f32 v1, v5, v1, -v3
	v_fma_f32 v3, 0.5, v7, v8
	v_fma_f32 v4, -v0, v6, v4
	v_fma_f32 v7, v7, 0.5, -v8
	v_fmac_f32_e32 v3, v0, v5
	v_fma_f32 v1, -v0, v6, v1
	v_fma_f32 v0, -v0, v5, v7
	ds_write_b64 v19, v[3:4] offset:1008
	ds_write_b64 v2, v[0:1] offset:2016
.LBB0_25:
	s_or_b64 exec, exec, s[2:3]
	s_waitcnt lgkmcnt(0)
	s_barrier
	s_and_saveexec_b64 s[0:1], vcc
	s_cbranch_execz .LBB0_28
; %bb.26:
	v_mul_lo_u32 v2, s5, v14
	v_mul_lo_u32 v3, s4, v15
	v_mad_u64_u32 v[0:1], s[0:1], s4, v14, 0
	v_mov_b32_e32 v6, s11
	v_lshl_add_u32 v8, v16, 3, 0
	v_add3_u32 v1, v1, v3, v2
	v_lshlrev_b64 v[0:1], 3, v[0:1]
	v_mov_b32_e32 v17, 0
	v_add_co_u32_e32 v7, vcc, s10, v0
	v_addc_co_u32_e32 v6, vcc, v6, v1, vcc
	v_lshlrev_b64 v[0:1], 3, v[12:13]
	ds_read2_b64 v[2:5], v8 offset1:126
	v_add_co_u32_e32 v0, vcc, v7, v0
	v_addc_co_u32_e32 v1, vcc, v6, v1, vcc
	v_lshlrev_b64 v[6:7], 3, v[16:17]
	s_movk_i32 s0, 0x7d
	v_add_co_u32_e32 v6, vcc, v0, v6
	v_addc_co_u32_e32 v7, vcc, v1, v7, vcc
	s_waitcnt lgkmcnt(0)
	global_store_dwordx2 v[6:7], v[2:3], off
	v_add_u32_e32 v2, 0x7e, v16
	v_mov_b32_e32 v3, v17
	v_lshlrev_b64 v[2:3], 3, v[2:3]
	v_add_co_u32_e32 v2, vcc, v0, v2
	v_addc_co_u32_e32 v3, vcc, v1, v3, vcc
	global_store_dwordx2 v[2:3], v[4:5], off
	v_add_u32_e32 v2, 0xfc, v16
	v_mov_b32_e32 v3, v17
	ds_read_b64 v[4:5], v8 offset:2016
	v_lshlrev_b64 v[2:3], 3, v[2:3]
	v_add_co_u32_e32 v2, vcc, v0, v2
	v_addc_co_u32_e32 v3, vcc, v1, v3, vcc
	v_cmp_eq_u32_e32 vcc, s0, v16
	s_waitcnt lgkmcnt(0)
	global_store_dwordx2 v[2:3], v[4:5], off
	s_and_b64 exec, exec, vcc
	s_cbranch_execz .LBB0_28
; %bb.27:
	ds_read_b64 v[2:3], v17 offset:3024
	s_waitcnt lgkmcnt(0)
	global_store_dwordx2 v[0:1], v[2:3], off offset:3024
.LBB0_28:
	s_endpgm
	.section	.rodata,"a",@progbits
	.p2align	6, 0x0
	.amdhsa_kernel fft_rtc_back_len378_factors_6_3_3_7_wgs_126_tpt_126_sp_op_CI_CI_unitstride_sbrr_R2C_dirReg
		.amdhsa_group_segment_fixed_size 0
		.amdhsa_private_segment_fixed_size 0
		.amdhsa_kernarg_size 104
		.amdhsa_user_sgpr_count 6
		.amdhsa_user_sgpr_private_segment_buffer 1
		.amdhsa_user_sgpr_dispatch_ptr 0
		.amdhsa_user_sgpr_queue_ptr 0
		.amdhsa_user_sgpr_kernarg_segment_ptr 1
		.amdhsa_user_sgpr_dispatch_id 0
		.amdhsa_user_sgpr_flat_scratch_init 0
		.amdhsa_user_sgpr_private_segment_size 0
		.amdhsa_uses_dynamic_stack 0
		.amdhsa_system_sgpr_private_segment_wavefront_offset 0
		.amdhsa_system_sgpr_workgroup_id_x 1
		.amdhsa_system_sgpr_workgroup_id_y 0
		.amdhsa_system_sgpr_workgroup_id_z 0
		.amdhsa_system_sgpr_workgroup_info 0
		.amdhsa_system_vgpr_workitem_id 0
		.amdhsa_next_free_vgpr 33
		.amdhsa_next_free_sgpr 28
		.amdhsa_reserve_vcc 1
		.amdhsa_reserve_flat_scratch 0
		.amdhsa_float_round_mode_32 0
		.amdhsa_float_round_mode_16_64 0
		.amdhsa_float_denorm_mode_32 3
		.amdhsa_float_denorm_mode_16_64 3
		.amdhsa_dx10_clamp 1
		.amdhsa_ieee_mode 1
		.amdhsa_fp16_overflow 0
		.amdhsa_exception_fp_ieee_invalid_op 0
		.amdhsa_exception_fp_denorm_src 0
		.amdhsa_exception_fp_ieee_div_zero 0
		.amdhsa_exception_fp_ieee_overflow 0
		.amdhsa_exception_fp_ieee_underflow 0
		.amdhsa_exception_fp_ieee_inexact 0
		.amdhsa_exception_int_div_zero 0
	.end_amdhsa_kernel
	.text
.Lfunc_end0:
	.size	fft_rtc_back_len378_factors_6_3_3_7_wgs_126_tpt_126_sp_op_CI_CI_unitstride_sbrr_R2C_dirReg, .Lfunc_end0-fft_rtc_back_len378_factors_6_3_3_7_wgs_126_tpt_126_sp_op_CI_CI_unitstride_sbrr_R2C_dirReg
                                        ; -- End function
	.section	.AMDGPU.csdata,"",@progbits
; Kernel info:
; codeLenInByte = 3836
; NumSgprs: 32
; NumVgprs: 33
; ScratchSize: 0
; MemoryBound: 0
; FloatMode: 240
; IeeeMode: 1
; LDSByteSize: 0 bytes/workgroup (compile time only)
; SGPRBlocks: 3
; VGPRBlocks: 8
; NumSGPRsForWavesPerEU: 32
; NumVGPRsForWavesPerEU: 33
; Occupancy: 7
; WaveLimiterHint : 1
; COMPUTE_PGM_RSRC2:SCRATCH_EN: 0
; COMPUTE_PGM_RSRC2:USER_SGPR: 6
; COMPUTE_PGM_RSRC2:TRAP_HANDLER: 0
; COMPUTE_PGM_RSRC2:TGID_X_EN: 1
; COMPUTE_PGM_RSRC2:TGID_Y_EN: 0
; COMPUTE_PGM_RSRC2:TGID_Z_EN: 0
; COMPUTE_PGM_RSRC2:TIDIG_COMP_CNT: 0
	.type	__hip_cuid_70f20379fed0fb4d,@object ; @__hip_cuid_70f20379fed0fb4d
	.section	.bss,"aw",@nobits
	.globl	__hip_cuid_70f20379fed0fb4d
__hip_cuid_70f20379fed0fb4d:
	.byte	0                               ; 0x0
	.size	__hip_cuid_70f20379fed0fb4d, 1

	.ident	"AMD clang version 19.0.0git (https://github.com/RadeonOpenCompute/llvm-project roc-6.4.0 25133 c7fe45cf4b819c5991fe208aaa96edf142730f1d)"
	.section	".note.GNU-stack","",@progbits
	.addrsig
	.addrsig_sym __hip_cuid_70f20379fed0fb4d
	.amdgpu_metadata
---
amdhsa.kernels:
  - .args:
      - .actual_access:  read_only
        .address_space:  global
        .offset:         0
        .size:           8
        .value_kind:     global_buffer
      - .offset:         8
        .size:           8
        .value_kind:     by_value
      - .actual_access:  read_only
        .address_space:  global
        .offset:         16
        .size:           8
        .value_kind:     global_buffer
      - .actual_access:  read_only
        .address_space:  global
        .offset:         24
        .size:           8
        .value_kind:     global_buffer
      - .actual_access:  read_only
        .address_space:  global
        .offset:         32
        .size:           8
        .value_kind:     global_buffer
      - .offset:         40
        .size:           8
        .value_kind:     by_value
      - .actual_access:  read_only
        .address_space:  global
        .offset:         48
        .size:           8
        .value_kind:     global_buffer
      - .actual_access:  read_only
        .address_space:  global
        .offset:         56
        .size:           8
        .value_kind:     global_buffer
      - .offset:         64
        .size:           4
        .value_kind:     by_value
      - .actual_access:  read_only
        .address_space:  global
        .offset:         72
        .size:           8
        .value_kind:     global_buffer
      - .actual_access:  read_only
        .address_space:  global
        .offset:         80
        .size:           8
        .value_kind:     global_buffer
      - .actual_access:  read_only
        .address_space:  global
        .offset:         88
        .size:           8
        .value_kind:     global_buffer
      - .actual_access:  write_only
        .address_space:  global
        .offset:         96
        .size:           8
        .value_kind:     global_buffer
    .group_segment_fixed_size: 0
    .kernarg_segment_align: 8
    .kernarg_segment_size: 104
    .language:       OpenCL C
    .language_version:
      - 2
      - 0
    .max_flat_workgroup_size: 126
    .name:           fft_rtc_back_len378_factors_6_3_3_7_wgs_126_tpt_126_sp_op_CI_CI_unitstride_sbrr_R2C_dirReg
    .private_segment_fixed_size: 0
    .sgpr_count:     32
    .sgpr_spill_count: 0
    .symbol:         fft_rtc_back_len378_factors_6_3_3_7_wgs_126_tpt_126_sp_op_CI_CI_unitstride_sbrr_R2C_dirReg.kd
    .uniform_work_group_size: 1
    .uses_dynamic_stack: false
    .vgpr_count:     33
    .vgpr_spill_count: 0
    .wavefront_size: 64
amdhsa.target:   amdgcn-amd-amdhsa--gfx906
amdhsa.version:
  - 1
  - 2
...

	.end_amdgpu_metadata
